;; amdgpu-corpus repo=ROCm/rocFFT kind=compiled arch=gfx906 opt=O3
	.text
	.amdgcn_target "amdgcn-amd-amdhsa--gfx906"
	.amdhsa_code_object_version 6
	.protected	fft_rtc_fwd_len192_factors_2_8_6_2_wgs_64_tpt_16_dim3_dp_op_CI_CI_unitstride_sbrc_aligned_dirReg ; -- Begin function fft_rtc_fwd_len192_factors_2_8_6_2_wgs_64_tpt_16_dim3_dp_op_CI_CI_unitstride_sbrc_aligned_dirReg
	.globl	fft_rtc_fwd_len192_factors_2_8_6_2_wgs_64_tpt_16_dim3_dp_op_CI_CI_unitstride_sbrc_aligned_dirReg
	.p2align	8
	.type	fft_rtc_fwd_len192_factors_2_8_6_2_wgs_64_tpt_16_dim3_dp_op_CI_CI_unitstride_sbrc_aligned_dirReg,@function
fft_rtc_fwd_len192_factors_2_8_6_2_wgs_64_tpt_16_dim3_dp_op_CI_CI_unitstride_sbrc_aligned_dirReg: ; @fft_rtc_fwd_len192_factors_2_8_6_2_wgs_64_tpt_16_dim3_dp_op_CI_CI_unitstride_sbrc_aligned_dirReg
; %bb.0:
	s_load_dwordx8 s[8:15], s[4:5], 0x0
	s_load_dwordx2 s[20:21], s[4:5], 0x50
	s_mov_b32 s19, 0
	s_waitcnt lgkmcnt(0)
	s_load_dwordx4 s[0:3], s[10:11], 0x8
	s_waitcnt lgkmcnt(0)
	s_add_i32 s0, s0, -1
	s_lshr_b32 s7, s0, 2
	s_add_i32 s7, s7, 1
	v_cvt_f32_u32_e32 v1, s7
	s_sub_i32 s0, 0, s7
	v_rcp_iflag_f32_e32 v1, v1
	v_mul_f32_e32 v1, 0x4f7ffffe, v1
	v_cvt_u32_f32_e32 v3, v1
	v_mov_b32_e32 v1, s2
	v_mov_b32_e32 v2, s3
	v_readfirstlane_b32 s1, v3
	s_mul_i32 s0, s0, s1
	s_mul_hi_u32 s0, s1, s0
	s_add_i32 s1, s1, s0
	s_mul_hi_u32 s0, s6, s1
	s_mul_i32 s1, s0, s7
	s_sub_i32 s1, s6, s1
	s_add_i32 s3, s0, 1
	s_sub_i32 s10, s1, s7
	s_cmp_ge_u32 s1, s7
	s_cselect_b32 s0, s3, s0
	s_cselect_b32 s1, s10, s1
	s_add_i32 s3, s0, 1
	s_cmp_ge_u32 s1, s7
	s_cselect_b32 s18, s3, s0
	s_load_dwordx2 s[0:1], s[12:13], 0x8
	v_cmp_lt_u64_e32 vcc, s[18:19], v[1:2]
	s_mov_b64 s[16:17], s[18:19]
	s_cbranch_vccnz .LBB0_2
; %bb.1:
	v_cvt_f32_u32_e32 v1, s2
	s_waitcnt lgkmcnt(0)
	s_sub_i32 s1, 0, s2
	v_rcp_iflag_f32_e32 v1, v1
	v_mul_f32_e32 v1, 0x4f7ffffe, v1
	v_cvt_u32_f32_e32 v1, v1
	v_readfirstlane_b32 s3, v1
	s_mul_i32 s1, s1, s3
	s_mul_hi_u32 s1, s3, s1
	s_add_i32 s3, s3, s1
	s_mul_hi_u32 s1, s18, s3
	s_mul_i32 s1, s1, s2
	s_sub_i32 s1, s18, s1
	s_sub_i32 s3, s1, s2
	s_cmp_ge_u32 s1, s2
	s_cselect_b32 s1, s3, s1
	s_sub_i32 s3, s1, s2
	s_cmp_ge_u32 s1, s2
	s_cselect_b32 s16, s3, s1
.LBB0_2:
	s_waitcnt lgkmcnt(0)
	s_mul_i32 s1, s18, s7
	s_mul_i32 s7, s7, s2
	v_cvt_f32_u32_e32 v1, s7
	s_load_dwordx4 s[24:27], s[12:13], 0x10
	s_sub_i32 s1, s6, s1
	s_lshl_b32 s10, s1, 2
	v_rcp_iflag_f32_e32 v1, v1
	s_mul_i32 s18, s10, s0
	s_waitcnt lgkmcnt(0)
	s_mul_i32 s1, s25, s16
	s_mul_hi_u32 s2, s24, s16
	v_mul_f32_e32 v1, 0x4f7ffffe, v1
	v_cvt_u32_f32_e32 v1, v1
	s_add_i32 s3, s2, s1
	s_sub_i32 s1, 0, s7
	s_mul_i32 s2, s24, s16
	v_readfirstlane_b32 s11, v1
	s_mul_i32 s1, s1, s11
	s_mul_hi_u32 s1, s11, s1
	s_add_i32 s11, s11, s1
	s_mul_hi_u32 s1, s6, s11
	s_mul_i32 s11, s1, s7
	s_sub_i32 s6, s6, s11
	s_add_i32 s11, s1, 1
	s_sub_i32 s12, s6, s7
	s_cmp_ge_u32 s6, s7
	s_cselect_b32 s1, s11, s1
	s_cselect_b32 s6, s12, s6
	s_add_i32 s11, s1, 1
	s_cmp_ge_u32 s6, s7
	s_cselect_b32 s17, s11, s1
	s_mul_i32 s1, s27, s17
	s_mul_hi_u32 s6, s26, s17
	s_add_i32 s7, s6, s1
	s_mul_i32 s6, s26, s17
	s_lshl_b64 s[6:7], s[6:7], 4
	s_add_u32 s1, s20, s6
	s_addc_u32 s6, s21, s7
	s_lshl_b64 s[2:3], s[2:3], 4
	s_add_u32 s1, s1, s2
	s_addc_u32 s6, s6, s3
	;; [unrolled: 3-line block ×3, first 2 shown]
	v_lshlrev_b32_e32 v9, 4, v0
	v_or_b32_e32 v49, 64, v0
	v_mov_b32_e32 v10, 4
	v_lshlrev_b32_sdwa v11, v10, v49 dst_sel:DWORD dst_unused:UNUSED_PAD src0_sel:DWORD src1_sel:WORD_0
	global_load_dwordx4 v[1:4], v9, s[2:3]
	global_load_dwordx4 v[5:8], v11, s[2:3]
	v_or_b32_e32 v50, 0x80, v0
	v_or_b32_e32 v9, 0xc0, v0
	s_movk_i32 s1, 0x156
	v_lshlrev_b32_sdwa v19, v10, v50 dst_sel:DWORD dst_unused:UNUSED_PAD src0_sel:DWORD src1_sel:WORD_0
	v_or_b32_e32 v10, 0x100, v0
	v_mul_u32_u24_sdwa v12, v9, s1 dst_sel:DWORD dst_unused:UNUSED_PAD src0_sel:WORD_0 src1_sel:DWORD
	v_or_b32_e32 v11, 0x140, v0
	v_mul_u32_u24_sdwa v13, v10, s1 dst_sel:DWORD dst_unused:UNUSED_PAD src0_sel:WORD_0 src1_sel:DWORD
	v_lshrrev_b32_e32 v51, 16, v12
	v_mul_u32_u24_sdwa v14, v11, s1 dst_sel:DWORD dst_unused:UNUSED_PAD src0_sel:WORD_0 src1_sel:DWORD
	v_lshrrev_b32_e32 v52, 16, v13
	v_mul_lo_u16_e32 v12, 0xc0, v51
	v_mul_lo_u32 v45, s0, v51
	v_lshrrev_b32_e32 v53, 16, v14
	v_sub_u16_e32 v54, v9, v12
	v_mul_lo_u16_e32 v9, 0xc0, v52
	v_sub_u16_e32 v55, v10, v9
	v_mul_lo_u16_e32 v9, 0xc0, v53
	v_mov_b32_e32 v46, 0
	v_sub_u16_e32 v56, v11, v9
	v_lshlrev_b32_e32 v11, 4, v54
	v_lshlrev_b64 v[9:10], 4, v[45:46]
	v_mul_lo_u32 v45, s0, v52
	v_mov_b32_e32 v12, s3
	v_add_co_u32_e32 v11, vcc, s2, v11
	v_addc_co_u32_e32 v12, vcc, 0, v12, vcc
	v_add_co_u32_e32 v17, vcc, v11, v9
	v_lshlrev_b32_e32 v20, 4, v55
	v_addc_co_u32_e32 v18, vcc, v12, v10, vcc
	global_load_dwordx4 v[9:12], v19, s[2:3]
	global_load_dwordx4 v[13:16], v[17:18], off
	v_lshlrev_b64 v[17:18], 4, v[45:46]
	v_mul_lo_u32 v45, s0, v53
	v_mov_b32_e32 v19, s3
	v_add_co_u32_e32 v20, vcc, s2, v20
	v_addc_co_u32_e32 v19, vcc, 0, v19, vcc
	v_add_co_u32_e32 v25, vcc, v20, v17
	v_lshlrev_b32_e32 v21, 4, v56
	v_addc_co_u32_e32 v26, vcc, v19, v18, vcc
	v_lshlrev_b64 v[17:18], 4, v[45:46]
	v_mov_b32_e32 v19, s3
	v_add_co_u32_e32 v20, vcc, s2, v21
	v_addc_co_u32_e32 v19, vcc, 0, v19, vcc
	v_add_co_u32_e32 v27, vcc, v20, v17
	v_addc_co_u32_e32 v28, vcc, v19, v18, vcc
	global_load_dwordx4 v[17:20], v[25:26], off
	global_load_dwordx4 v[21:24], v[27:28], off
	v_or_b32_e32 v25, 0x180, v0
	v_mul_u32_u24_sdwa v26, v25, s1 dst_sel:DWORD dst_unused:UNUSED_PAD src0_sel:WORD_0 src1_sel:DWORD
	v_lshrrev_b32_e32 v57, 16, v26
	v_mul_lo_u16_e32 v26, 0xc0, v57
	v_mul_lo_u32 v45, s0, v57
	v_sub_u16_e32 v58, v25, v26
	v_lshlrev_b32_e32 v25, 4, v58
	v_mov_b32_e32 v26, s3
	v_add_co_u32_e32 v27, vcc, s2, v25
	v_addc_co_u32_e32 v28, vcc, 0, v26, vcc
	v_lshlrev_b64 v[25:26], 4, v[45:46]
	v_mov_b32_e32 v48, s3
	v_add_co_u32_e32 v33, vcc, v27, v25
	v_or_b32_e32 v25, 0x1c0, v0
	v_addc_co_u32_e32 v34, vcc, v28, v26, vcc
	v_mul_u32_u24_sdwa v26, v25, s1 dst_sel:DWORD dst_unused:UNUSED_PAD src0_sel:WORD_0 src1_sel:DWORD
	v_lshrrev_b32_e32 v59, 16, v26
	v_mul_lo_u16_e32 v26, 0xc0, v59
	v_mul_lo_u32 v45, s0, v59
	v_sub_u16_e32 v60, v25, v26
	v_lshlrev_b32_e32 v25, 4, v60
	v_mov_b32_e32 v26, s3
	v_add_co_u32_e32 v27, vcc, s2, v25
	v_addc_co_u32_e32 v28, vcc, 0, v26, vcc
	v_lshlrev_b64 v[25:26], 4, v[45:46]
	s_movk_i32 s1, 0x2ab
	v_add_co_u32_e32 v35, vcc, v27, v25
	v_or_b32_e32 v25, 0x200, v0
	v_addc_co_u32_e32 v36, vcc, v28, v26, vcc
	v_mul_u32_u24_sdwa v26, v25, s1 dst_sel:DWORD dst_unused:UNUSED_PAD src0_sel:WORD_0 src1_sel:DWORD
	v_lshrrev_b32_e32 v61, 17, v26
	v_mul_lo_u16_e32 v26, 0xc0, v61
	v_mul_lo_u32 v45, s0, v61
	v_sub_u16_e32 v62, v25, v26
	v_lshlrev_b32_e32 v25, 4, v62
	v_mov_b32_e32 v26, s3
	v_add_co_u32_e32 v27, vcc, s2, v25
	v_addc_co_u32_e32 v28, vcc, 0, v26, vcc
	v_lshlrev_b64 v[25:26], 4, v[45:46]
	v_lshlrev_b16_e32 v69, 2, v0
	v_add_co_u32_e32 v41, vcc, v27, v25
	v_addc_co_u32_e32 v42, vcc, v28, v26, vcc
	global_load_dwordx4 v[25:28], v[33:34], off
	global_load_dwordx4 v[29:32], v[35:36], off
	v_or_b32_e32 v33, 0x240, v0
	v_mul_u32_u24_sdwa v34, v33, s1 dst_sel:DWORD dst_unused:UNUSED_PAD src0_sel:WORD_0 src1_sel:DWORD
	v_lshrrev_b32_e32 v63, 17, v34
	v_mul_lo_u16_e32 v34, 0xc0, v63
	v_mul_lo_u32 v45, s0, v63
	v_sub_u16_e32 v64, v33, v34
	v_lshlrev_b32_e32 v33, 4, v64
	v_mov_b32_e32 v34, s3
	v_add_co_u32_e32 v35, vcc, s2, v33
	v_addc_co_u32_e32 v36, vcc, 0, v34, vcc
	v_lshlrev_b64 v[33:34], 4, v[45:46]
	v_lshl_add_u32 v69, v69, 4, 0
	v_add_co_u32_e32 v43, vcc, v35, v33
	v_addc_co_u32_e32 v44, vcc, v36, v34, vcc
	global_load_dwordx4 v[33:36], v[41:42], off
	global_load_dwordx4 v[37:40], v[43:44], off
	v_or_b32_e32 v41, 0x280, v0
	v_mul_u32_u24_sdwa v42, v41, s1 dst_sel:DWORD dst_unused:UNUSED_PAD src0_sel:WORD_0 src1_sel:DWORD
	v_lshrrev_b32_e32 v65, 17, v42
	v_mul_lo_u16_e32 v42, 0xc0, v65
	v_mul_lo_u32 v45, s0, v65
	v_sub_u16_e32 v66, v41, v42
	v_lshlrev_b32_e32 v41, 4, v66
	v_mov_b32_e32 v42, s3
	v_add_co_u32_e32 v43, vcc, s2, v41
	v_addc_co_u32_e32 v44, vcc, 0, v42, vcc
	v_lshlrev_b64 v[41:42], 4, v[45:46]
	v_or_b32_e32 v45, 0x2c0, v0
	v_mul_u32_u24_sdwa v47, v45, s1 dst_sel:DWORD dst_unused:UNUSED_PAD src0_sel:WORD_0 src1_sel:DWORD
	v_lshrrev_b32_e32 v67, 17, v47
	v_mul_lo_u16_e32 v47, 0xc0, v67
	v_sub_u16_e32 v68, v45, v47
	v_mul_lo_u32 v45, s0, v67
	v_add_co_u32_e32 v41, vcc, v43, v41
	v_addc_co_u32_e32 v42, vcc, v44, v42, vcc
	v_lshlrev_b32_e32 v47, 4, v68
	global_load_dwordx4 v[41:44], v[41:42], off
	v_add_co_u32_e32 v47, vcc, s2, v47
	v_lshlrev_b64 v[45:46], 4, v[45:46]
	v_addc_co_u32_e32 v48, vcc, 0, v48, vcc
	v_add_co_u32_e32 v45, vcc, v47, v45
	v_addc_co_u32_e32 v46, vcc, v48, v46, vcc
	global_load_dwordx4 v[45:48], v[45:46], off
	s_waitcnt vmcnt(11)
	ds_write_b128 v69, v[1:4]
	v_lshlrev_b16_e32 v1, 2, v49
	v_lshlrev_b16_e32 v2, 2, v50
	v_lshl_add_u32 v1, v1, 4, 0
	v_lshl_add_u32 v2, v2, 4, 0
	s_waitcnt vmcnt(10)
	ds_write_b128 v1, v[5:8]
	s_waitcnt vmcnt(9)
	ds_write_b128 v2, v[9:12]
	v_lshlrev_b16_e32 v1, 2, v54
	v_or_b32_e32 v1, v1, v51
	v_and_b32_e32 v1, 0xffff, v1
	v_lshl_add_u32 v1, v1, 4, 0
	s_waitcnt vmcnt(8)
	ds_write_b128 v1, v[13:16]
	v_lshlrev_b16_e32 v1, 2, v55
	v_or_b32_e32 v1, v1, v52
	v_and_b32_e32 v1, 0xffff, v1
	v_lshl_add_u32 v1, v1, 4, 0
	;; [unrolled: 6-line block ×5, first 2 shown]
	s_waitcnt vmcnt(4)
	ds_write_b128 v1, v[29:32]
	v_lshlrev_b16_e32 v1, 2, v62
	v_or_b32_e32 v1, v1, v61
	v_lshlrev_b16_e32 v2, 2, v64
	v_and_b32_e32 v1, 0xffff, v1
	v_or_b32_e32 v2, v2, v63
	v_lshl_add_u32 v1, v1, 4, 0
	v_and_b32_e32 v2, 0xffff, v2
	v_lshl_add_u32 v2, v2, 4, 0
	v_lshrrev_b32_e32 v94, 2, v0
	v_lshlrev_b32_e32 v49, 6, v94
	v_or_b32_e32 v99, 16, v94
	v_or_b32_e32 v98, 32, v94
	s_waitcnt vmcnt(3)
	ds_write_b128 v1, v[33:36]
	s_load_dwordx2 s[6:7], s[14:15], 0x8
	s_load_dwordx4 s[0:3], s[14:15], 0x10
	s_waitcnt vmcnt(2)
	ds_write_b128 v2, v[37:40]
	v_lshlrev_b16_e32 v2, 2, v66
	v_or_b32_e32 v2, v2, v65
	v_and_b32_e32 v2, 0xffff, v2
	v_lshl_add_u32 v2, v2, 4, 0
	v_and_b32_e32 v1, 3, v0
	v_lshlrev_b32_e32 v93, 4, v1
	v_add3_u32 v100, 0, v49, v93
	v_add_u32_e32 v49, v100, v49
	v_or_b32_e32 v97, 48, v94
	v_or_b32_e32 v96, 64, v94
	;; [unrolled: 1-line block ×3, first 2 shown]
	s_load_dwordx2 s[4:5], s[4:5], 0x58
	v_cmp_gt_u32_e32 vcc, 32, v0
	v_lshlrev_b32_e32 v103, 6, v99
	s_waitcnt vmcnt(1)
	ds_write_b128 v2, v[41:44]
	v_lshlrev_b16_e32 v2, 2, v68
	v_or_b32_e32 v2, v2, v67
	v_and_b32_e32 v2, 0xffff, v2
	v_lshl_add_u32 v2, v2, 4, 0
	s_waitcnt vmcnt(0)
	ds_write_b128 v2, v[45:48]
	s_waitcnt lgkmcnt(0)
	; wave barrier
	s_waitcnt lgkmcnt(0)
	ds_read_b128 v[1:4], v100 offset:6144
	ds_read_b128 v[5:8], v100
	ds_read_b128 v[9:12], v100 offset:1024
	ds_read_b128 v[13:16], v100 offset:7168
	;; [unrolled: 1-line block ×10, first 2 shown]
	s_waitcnt lgkmcnt(10)
	v_add_f64 v[1:2], v[5:6], -v[1:2]
	v_add_f64 v[3:4], v[7:8], -v[3:4]
	s_waitcnt lgkmcnt(8)
	v_add_f64 v[13:14], v[9:10], -v[13:14]
	v_add_f64 v[15:16], v[11:12], -v[15:16]
	;; [unrolled: 3-line block ×3, first 2 shown]
	s_waitcnt lgkmcnt(0)
	; wave barrier
	s_waitcnt lgkmcnt(0)
	v_fma_f64 v[5:6], v[5:6], 2.0, -v[1:2]
	v_fma_f64 v[7:8], v[7:8], 2.0, -v[3:4]
	;; [unrolled: 1-line block ×4, first 2 shown]
	ds_write_b128 v49, v[1:4] offset:64
	v_lshlrev_b32_e32 v1, 7, v99
	v_add3_u32 v1, 0, v1, v93
	v_add_f64 v[3:4], v[35:36], -v[43:44]
	ds_write_b128 v49, v[5:8]
	ds_write_b128 v1, v[9:12]
	ds_write_b128 v1, v[13:16] offset:64
	v_fma_f64 v[9:10], v[17:18], 2.0, -v[25:26]
	v_fma_f64 v[11:12], v[19:20], 2.0, -v[27:28]
	v_add_f64 v[17:18], v[21:22], -v[29:30]
	v_add_f64 v[19:20], v[23:24], -v[31:32]
	v_lshlrev_b32_e32 v1, 7, v98
	v_add3_u32 v13, 0, v1, v93
	v_add_f64 v[1:2], v[33:34], -v[41:42]
	v_add_f64 v[5:6], v[37:38], -v[45:46]
	;; [unrolled: 1-line block ×3, first 2 shown]
	ds_write_b128 v13, v[9:12]
	ds_write_b128 v13, v[25:28] offset:64
	v_fma_f64 v[21:22], v[21:22], 2.0, -v[17:18]
	v_fma_f64 v[23:24], v[23:24], 2.0, -v[19:20]
	v_fma_f64 v[15:16], v[35:36], 2.0, -v[3:4]
	v_lshlrev_b32_e32 v25, 7, v97
	v_fma_f64 v[13:14], v[33:34], 2.0, -v[1:2]
	v_fma_f64 v[9:10], v[37:38], 2.0, -v[5:6]
	;; [unrolled: 1-line block ×3, first 2 shown]
	v_add3_u32 v25, 0, v25, v93
	ds_write_b128 v25, v[21:24]
	ds_write_b128 v25, v[17:20] offset:64
	v_lshlrev_b32_e32 v17, 7, v96
	v_add3_u32 v17, 0, v17, v93
	ds_write_b128 v17, v[13:16]
	ds_write_b128 v17, v[1:4] offset:64
	v_lshlrev_b32_e32 v17, 7, v95
	;; [unrolled: 4-line block ×3, first 2 shown]
	v_sub_u32_e32 v101, v25, v17
	v_and_b32_e32 v17, 60, v0
	v_lshlrev_b32_e32 v17, 4, v17
	v_add3_u32 v102, 0, v17, v93
	s_waitcnt lgkmcnt(0)
	; wave barrier
	s_waitcnt lgkmcnt(0)
	ds_read_b128 v[49:52], v102
	ds_read_b128 v[89:92], v102 offset:1536
	ds_read_b128 v[81:84], v102 offset:4608
	;; [unrolled: 1-line block ×5, first 2 shown]
	ds_read_b128 v[85:88], v101
	ds_read_b128 v[57:60], v102 offset:10752
                                        ; implicit-def: $vgpr19_vgpr20
                                        ; implicit-def: $vgpr27_vgpr28
                                        ; implicit-def: $vgpr31_vgpr32
                                        ; implicit-def: $vgpr23_vgpr24
	s_and_saveexec_b64 s[12:13], vcc
	s_cbranch_execz .LBB0_4
; %bb.3:
	v_add3_u32 v13, 0, v103, v93
	ds_read_b128 v[1:4], v102 offset:2560
	ds_read_b128 v[9:12], v102 offset:4096
	;; [unrolled: 1-line block ×6, first 2 shown]
	ds_read_b128 v[13:16], v13
	ds_read_b128 v[29:32], v102 offset:11776
.LBB0_4:
	s_or_b64 exec, exec, s[12:13]
	v_bfe_u32 v0, v0, 2, 1
	v_mul_u32_u24_e32 v33, 7, v0
	v_lshlrev_b32_e32 v104, 4, v33
	global_load_dwordx4 v[45:48], v104, s[8:9]
	global_load_dwordx4 v[41:44], v104, s[8:9] offset:16
	global_load_dwordx4 v[37:40], v104, s[8:9] offset:32
	global_load_dwordx4 v[33:36], v104, s[8:9] offset:48
	global_load_dwordx4 v[65:68], v104, s[8:9] offset:80
	global_load_dwordx4 v[69:72], v104, s[8:9] offset:64
	global_load_dwordx4 v[61:64], v104, s[8:9] offset:96
	s_mov_b32 s12, 0x667f3bcd
	s_mov_b32 s13, 0xbfe6a09e
	;; [unrolled: 1-line block ×5, first 2 shown]
	s_waitcnt lgkmcnt(0)
	; wave barrier
	s_waitcnt vmcnt(6) lgkmcnt(0)
	v_mul_f64 v[104:105], v[91:92], v[47:48]
	v_mul_f64 v[106:107], v[89:90], v[47:48]
	s_waitcnt vmcnt(5)
	v_mul_f64 v[108:109], v[87:88], v[43:44]
	v_mul_f64 v[110:111], v[85:86], v[43:44]
	s_waitcnt vmcnt(4)
	v_mul_f64 v[112:113], v[83:84], v[39:40]
	v_fma_f64 v[89:90], v[89:90], v[45:46], -v[104:105]
	v_mul_f64 v[104:105], v[81:82], v[39:40]
	v_fma_f64 v[91:92], v[91:92], v[45:46], v[106:107]
	s_waitcnt vmcnt(3)
	v_mul_f64 v[106:107], v[79:80], v[35:36]
	v_fma_f64 v[85:86], v[85:86], v[41:42], -v[108:109]
	v_fma_f64 v[87:88], v[87:88], v[41:42], v[110:111]
	v_mul_f64 v[108:109], v[77:78], v[35:36]
	s_waitcnt vmcnt(2)
	v_mul_f64 v[110:111], v[75:76], v[67:68]
	v_fma_f64 v[81:82], v[81:82], v[37:38], -v[112:113]
	v_fma_f64 v[83:84], v[83:84], v[37:38], v[104:105]
	v_mul_f64 v[104:105], v[73:74], v[67:68]
	v_fma_f64 v[77:78], v[77:78], v[33:34], -v[106:107]
	s_waitcnt vmcnt(1)
	v_mul_f64 v[106:107], v[55:56], v[71:72]
	v_lshl_or_b32 v112, v94, 3, v94
	v_fma_f64 v[79:80], v[79:80], v[33:34], v[108:109]
	v_mul_f64 v[108:109], v[53:54], v[71:72]
	v_fma_f64 v[73:74], v[73:74], v[65:66], -v[110:111]
	s_waitcnt vmcnt(0)
	v_mul_f64 v[110:111], v[57:58], v[63:64]
	v_fma_f64 v[75:76], v[75:76], v[65:66], v[104:105]
	v_mul_f64 v[104:105], v[59:60], v[63:64]
	v_fma_f64 v[53:54], v[53:54], v[69:70], -v[106:107]
	v_add_f64 v[77:78], v[49:50], -v[77:78]
	v_add_f64 v[79:80], v[51:52], -v[79:80]
	v_fma_f64 v[55:56], v[55:56], v[69:70], v[108:109]
	v_add_f64 v[73:74], v[85:86], -v[73:74]
	v_fma_f64 v[59:60], v[59:60], v[61:62], v[110:111]
	v_add_f64 v[75:76], v[87:88], -v[75:76]
	v_fma_f64 v[57:58], v[57:58], v[61:62], -v[104:105]
	v_add_f64 v[53:54], v[89:90], -v[53:54]
	v_fma_f64 v[49:50], v[49:50], 2.0, -v[77:78]
	v_fma_f64 v[51:52], v[51:52], 2.0, -v[79:80]
	v_add_f64 v[55:56], v[91:92], -v[55:56]
	v_fma_f64 v[85:86], v[85:86], 2.0, -v[73:74]
	v_add_f64 v[59:60], v[83:84], -v[59:60]
	;; [unrolled: 2-line block ×4, first 2 shown]
	v_add_f64 v[106:107], v[79:80], v[73:74]
	v_fma_f64 v[91:92], v[91:92], 2.0, -v[55:56]
	v_and_b32_e32 v112, 0x71, v112
	v_fma_f64 v[75:76], v[83:84], 2.0, -v[59:60]
	v_add_f64 v[59:60], v[53:54], -v[59:60]
	v_fma_f64 v[73:74], v[81:82], 2.0, -v[57:58]
	v_add_f64 v[57:58], v[55:56], v[57:58]
	v_add_f64 v[81:82], v[49:50], -v[85:86]
	v_add_f64 v[83:84], v[51:52], -v[87:88]
	v_fma_f64 v[108:109], v[77:78], 2.0, -v[104:105]
	v_fma_f64 v[110:111], v[79:80], 2.0, -v[106:107]
	v_add_f64 v[75:76], v[91:92], -v[75:76]
	v_fma_f64 v[77:78], v[53:54], 2.0, -v[59:60]
	v_add_f64 v[73:74], v[89:90], -v[73:74]
	v_fma_f64 v[79:80], v[55:56], 2.0, -v[57:58]
	v_fma_f64 v[53:54], v[59:60], s[14:15], v[104:105]
	v_fma_f64 v[55:56], v[57:58], s[14:15], v[106:107]
	v_fma_f64 v[85:86], v[49:50], 2.0, -v[81:82]
	v_fma_f64 v[87:88], v[51:52], 2.0, -v[83:84]
	;; [unrolled: 1-line block ×3, first 2 shown]
	v_lshlrev_b32_e32 v114, 6, v112
	v_fma_f64 v[89:90], v[89:90], 2.0, -v[73:74]
	v_fma_f64 v[112:113], v[77:78], s[12:13], v[108:109]
	v_add_f64 v[49:50], v[81:82], -v[75:76]
	v_fma_f64 v[75:76], v[79:80], s[12:13], v[110:111]
	v_add_f64 v[51:52], v[83:84], v[73:74]
	v_fma_f64 v[53:54], v[57:58], s[12:13], v[53:54]
	v_fma_f64 v[55:56], v[59:60], s[14:15], v[55:56]
	v_add_f64 v[59:60], v[87:88], -v[91:92]
	v_add_f64 v[57:58], v[85:86], -v[89:90]
	v_fma_f64 v[73:74], v[79:80], s[12:13], v[112:113]
	v_fma_f64 v[75:76], v[77:78], s[14:15], v[75:76]
	v_fma_f64 v[77:78], v[81:82], 2.0, -v[49:50]
	v_fma_f64 v[79:80], v[83:84], 2.0, -v[51:52]
	;; [unrolled: 1-line block ×8, first 2 shown]
	v_add3_u32 v104, 0, v114, v93
	ds_write_b128 v104, v[49:52] offset:768
	ds_write_b128 v104, v[77:80] offset:256
	;; [unrolled: 1-line block ×5, first 2 shown]
	ds_write_b128 v104, v[85:88]
	ds_write_b128 v104, v[89:92] offset:128
	ds_write_b128 v104, v[53:56] offset:896
	s_and_saveexec_b64 s[18:19], vcc
	s_cbranch_execz .LBB0_6
; %bb.5:
	v_mul_f64 v[49:50], v[11:12], v[43:44]
	v_mul_f64 v[51:52], v[27:28], v[67:68]
	;; [unrolled: 1-line block ×8, first 2 shown]
	v_fma_f64 v[49:50], v[9:10], v[41:42], -v[49:50]
	v_fma_f64 v[51:52], v[25:26], v[65:66], -v[51:52]
	v_fma_f64 v[53:54], v[19:20], v[33:34], v[53:54]
	v_mul_f64 v[39:40], v[7:8], v[39:40]
	v_mul_f64 v[73:74], v[31:32], v[63:64]
	;; [unrolled: 1-line block ×5, first 2 shown]
	v_fma_f64 v[1:2], v[1:2], v[45:46], -v[55:56]
	v_add_f64 v[43:44], v[49:50], -v[51:52]
	v_add_f64 v[51:52], v[15:16], -v[53:54]
	v_mul_f64 v[53:54], v[29:30], v[63:64]
	v_fma_f64 v[3:4], v[3:4], v[45:46], v[47:48]
	v_fma_f64 v[23:24], v[23:24], v[69:70], v[71:72]
	v_fma_f64 v[5:6], v[5:6], v[37:38], -v[39:40]
	v_fma_f64 v[29:30], v[29:30], v[61:62], -v[73:74]
	v_fma_f64 v[9:10], v[11:12], v[41:42], v[9:10]
	v_fma_f64 v[11:12], v[27:28], v[65:66], v[25:26]
	v_fma_f64 v[21:22], v[21:22], v[69:70], -v[57:58]
	v_fma_f64 v[7:8], v[7:8], v[37:38], v[59:60]
	v_fma_f64 v[17:18], v[17:18], v[33:34], -v[19:20]
	v_fma_f64 v[19:20], v[31:32], v[61:62], v[53:54]
	v_add_f64 v[23:24], v[3:4], -v[23:24]
	v_add_f64 v[25:26], v[5:6], -v[29:30]
	v_fma_f64 v[15:16], v[15:16], 2.0, -v[51:52]
	v_add_f64 v[11:12], v[9:10], -v[11:12]
	v_add_f64 v[21:22], v[1:2], -v[21:22]
	v_add_f64 v[27:28], v[51:52], v[43:44]
	v_add_f64 v[17:18], v[13:14], -v[17:18]
	v_add_f64 v[19:20], v[7:8], -v[19:20]
	v_fma_f64 v[3:4], v[3:4], 2.0, -v[23:24]
	v_add_f64 v[29:30], v[23:24], v[25:26]
	v_fma_f64 v[5:6], v[5:6], 2.0, -v[25:26]
	v_fma_f64 v[9:10], v[9:10], 2.0, -v[11:12]
	;; [unrolled: 1-line block ×6, first 2 shown]
	v_add_f64 v[19:20], v[21:22], -v[19:20]
	v_add_f64 v[33:34], v[17:18], -v[11:12]
	v_fma_f64 v[35:36], v[51:52], 2.0, -v[27:28]
	v_add_f64 v[31:32], v[15:16], -v[9:10]
	v_fma_f64 v[9:10], v[23:24], 2.0, -v[29:30]
	v_add_f64 v[5:6], v[1:2], -v[5:6]
	v_add_f64 v[37:38], v[13:14], -v[25:26]
	;; [unrolled: 1-line block ×3, first 2 shown]
	v_fma_f64 v[11:12], v[21:22], 2.0, -v[19:20]
	v_fma_f64 v[17:18], v[17:18], 2.0, -v[33:34]
	v_fma_f64 v[7:8], v[29:30], s[14:15], v[27:28]
	v_fma_f64 v[25:26], v[15:16], 2.0, -v[31:32]
	v_fma_f64 v[21:22], v[9:10], s[12:13], v[35:36]
	v_fma_f64 v[1:2], v[1:2], 2.0, -v[5:6]
	v_fma_f64 v[39:40], v[13:14], 2.0, -v[37:38]
	;; [unrolled: 1-line block ×3, first 2 shown]
	v_fma_f64 v[43:44], v[19:20], s[14:15], v[33:34]
	v_fma_f64 v[41:42], v[11:12], s[12:13], v[17:18]
	;; [unrolled: 1-line block ×3, first 2 shown]
	v_add_f64 v[7:8], v[31:32], v[5:6]
	v_fma_f64 v[11:12], v[11:12], s[14:15], v[21:22]
	v_add_f64 v[5:6], v[37:38], -v[23:24]
	v_add_f64 v[13:14], v[39:40], -v[1:2]
	v_add_f64 v[15:16], v[25:26], -v[15:16]
	v_fma_f64 v[1:2], v[29:30], s[12:13], v[43:44]
	v_fma_f64 v[9:10], v[9:10], s[12:13], v[41:42]
	v_fma_f64 v[19:20], v[27:28], 2.0, -v[3:4]
	v_fma_f64 v[23:24], v[31:32], 2.0, -v[7:8]
	;; [unrolled: 1-line block ×6, first 2 shown]
	v_lshlrev_b32_e32 v45, 3, v99
	v_fma_f64 v[25:26], v[17:18], 2.0, -v[9:10]
	v_fma_f64 v[17:18], v[33:34], 2.0, -v[1:2]
	s_movk_i32 s7, 0xb0
	v_and_or_b32 v0, v45, s7, v0
	v_lshlrev_b32_e32 v0, 6, v0
	v_add3_u32 v0, 0, v0, v93
	ds_write_b128 v0, v[29:32]
	ds_write_b128 v0, v[25:28] offset:128
	ds_write_b128 v0, v[21:24] offset:256
	;; [unrolled: 1-line block ×7, first 2 shown]
.LBB0_6:
	s_or_b64 exec, exec, s[18:19]
	v_mul_u32_u24_e32 v0, 5, v94
	v_lshlrev_b32_e32 v0, 4, v0
	s_waitcnt lgkmcnt(0)
	; wave barrier
	s_waitcnt lgkmcnt(0)
	global_load_dwordx4 v[3:6], v0, s[8:9] offset:224
	global_load_dwordx4 v[7:10], v0, s[8:9] offset:240
	;; [unrolled: 1-line block ×5, first 2 shown]
	v_lshlrev_b32_e32 v1, 6, v98
	v_add3_u32 v1, 0, v1, v93
	v_lshlrev_b32_e32 v2, 6, v96
	ds_read_b128 v[23:26], v102
	ds_read_b128 v[27:30], v102 offset:3072
	ds_read_b128 v[31:34], v102 offset:6144
	;; [unrolled: 1-line block ×7, first 2 shown]
	ds_read_b128 v[55:58], v1
	v_add3_u32 v2, 0, v2, v93
	v_add3_u32 v0, 0, v103, v93
	ds_read_b128 v[59:62], v2
	ds_read_b128 v[63:66], v0
	ds_read_b128 v[67:70], v102 offset:11264
	s_mov_b32 s12, 0xe8584caa
	s_mov_b32 s13, 0x3febb67a
	;; [unrolled: 1-line block ×4, first 2 shown]
	s_waitcnt lgkmcnt(0)
	; wave barrier
	s_waitcnt lgkmcnt(0)
	s_movk_i32 s7, 0x60
	s_mul_i32 s1, s1, s16
	s_waitcnt vmcnt(4)
	v_mul_f64 v[73:74], v[55:56], v[5:6]
	s_waitcnt vmcnt(3)
	v_mul_f64 v[75:76], v[61:62], v[9:10]
	v_mul_f64 v[77:78], v[59:60], v[9:10]
	s_waitcnt vmcnt(2)
	v_mul_f64 v[79:80], v[33:34], v[13:14]
	v_mul_f64 v[81:82], v[31:32], v[13:14]
	s_waitcnt vmcnt(1)
	v_mul_f64 v[83:84], v[41:42], v[17:18]
	v_mul_f64 v[85:86], v[39:40], v[17:18]
	s_waitcnt vmcnt(0)
	v_mul_f64 v[87:88], v[49:50], v[21:22]
	v_mul_f64 v[89:90], v[47:48], v[21:22]
	v_mul_f64 v[71:72], v[57:58], v[5:6]
	;; [unrolled: 1-line block ×12, first 2 shown]
	v_fma_f64 v[57:58], v[57:58], v[3:4], v[73:74]
	v_fma_f64 v[59:60], v[59:60], v[7:8], -v[75:76]
	v_fma_f64 v[61:62], v[61:62], v[7:8], v[77:78]
	v_fma_f64 v[31:32], v[31:32], v[11:12], -v[79:80]
	;; [unrolled: 2-line block ×5, first 2 shown]
	v_fma_f64 v[27:28], v[27:28], v[3:4], -v[91:92]
	v_fma_f64 v[29:30], v[29:30], v[3:4], v[5:6]
	v_fma_f64 v[3:4], v[35:36], v[7:8], -v[103:104]
	v_fma_f64 v[5:6], v[37:38], v[7:8], v[9:10]
	;; [unrolled: 2-line block ×5, first 2 shown]
	v_add_f64 v[13:14], v[23:24], v[59:60]
	v_add_f64 v[15:16], v[59:60], v[39:40]
	v_add_f64 v[17:18], v[61:62], -v[41:42]
	v_add_f64 v[19:20], v[25:26], v[61:62]
	v_add_f64 v[43:44], v[61:62], v[41:42]
	v_add_f64 v[45:46], v[59:60], -v[39:40]
	v_add_f64 v[53:54], v[31:32], v[47:48]
	v_add_f64 v[59:60], v[33:34], -v[49:50]
	v_add_f64 v[61:62], v[57:58], v[33:34]
	v_add_f64 v[33:34], v[33:34], v[49:50]
	v_add_f64 v[51:52], v[55:56], v[31:32]
	v_add_f64 v[31:32], v[31:32], -v[47:48]
	v_add_f64 v[67:68], v[63:64], v[3:4]
	v_add_f64 v[69:70], v[3:4], v[9:10]
	v_add_f64 v[75:76], v[3:4], -v[9:10]
	v_add_f64 v[77:78], v[27:28], v[7:8]
	v_add_f64 v[3:4], v[7:8], v[37:38]
	v_add_f64 v[83:84], v[7:8], -v[37:38]
	v_add_f64 v[7:8], v[13:14], v[39:40]
	v_fma_f64 v[13:14], v[15:16], -0.5, v[23:24]
	v_add_f64 v[15:16], v[19:20], v[41:42]
	v_fma_f64 v[19:20], v[43:44], -0.5, v[25:26]
	v_fma_f64 v[25:26], v[53:54], -0.5, v[55:56]
	;; [unrolled: 1-line block ×3, first 2 shown]
	v_add_f64 v[73:74], v[65:66], v[5:6]
	v_add_f64 v[81:82], v[35:36], v[21:22]
	;; [unrolled: 1-line block ×3, first 2 shown]
	v_fma_f64 v[51:52], v[17:18], s[12:13], v[13:14]
	v_fma_f64 v[53:54], v[17:18], s[14:15], v[13:14]
	v_add_f64 v[71:72], v[5:6], -v[11:12]
	v_fma_f64 v[17:18], v[59:60], s[14:15], v[25:26]
	v_fma_f64 v[13:14], v[31:32], s[14:15], v[33:34]
	v_add_f64 v[5:6], v[5:6], v[11:12]
	v_add_f64 v[79:80], v[35:36], -v[21:22]
	v_add_f64 v[39:40], v[61:62], v[49:50]
	v_add_f64 v[49:50], v[73:74], v[11:12]
	v_fma_f64 v[11:12], v[3:4], -0.5, v[27:28]
	v_fma_f64 v[27:28], v[81:82], -0.5, v[29:30]
	v_fma_f64 v[25:26], v[59:60], s[12:13], v[25:26]
	v_fma_f64 v[31:32], v[31:32], s[12:13], v[33:34]
	;; [unrolled: 1-line block ×4, first 2 shown]
	v_mul_f64 v[19:20], v[13:14], s[12:13]
	v_mul_f64 v[55:56], v[17:18], -0.5
	v_fma_f64 v[43:44], v[69:70], -0.5, v[63:64]
	v_add_f64 v[41:42], v[67:68], v[9:10]
	v_fma_f64 v[47:48], v[5:6], -0.5, v[65:66]
	v_add_f64 v[3:4], v[7:8], v[23:24]
	v_add_f64 v[5:6], v[15:16], v[39:40]
	v_add_f64 v[7:8], v[7:8], -v[23:24]
	v_add_f64 v[9:10], v[15:16], -v[39:40]
	v_fma_f64 v[19:20], v[25:26], 0.5, v[19:20]
	v_fma_f64 v[23:24], v[31:32], s[12:13], v[55:56]
	v_fma_f64 v[39:40], v[79:80], s[12:13], v[11:12]
	;; [unrolled: 1-line block ×3, first 2 shown]
	v_mul_f64 v[57:58], v[25:26], s[14:15]
	v_fma_f64 v[61:62], v[71:72], s[12:13], v[43:44]
	v_fma_f64 v[63:64], v[71:72], s[14:15], v[43:44]
	;; [unrolled: 1-line block ×4, first 2 shown]
	v_mul_f64 v[59:60], v[31:32], -0.5
	v_add_f64 v[29:30], v[29:30], v[35:36]
	v_add_f64 v[11:12], v[51:52], v[19:20]
	v_add_f64 v[19:20], v[51:52], -v[19:20]
	v_mul_f64 v[51:52], v[55:56], s[12:13]
	v_mul_f64 v[35:36], v[39:40], s[14:15]
	v_fma_f64 v[25:26], v[13:14], 0.5, v[57:58]
	v_add_f64 v[15:16], v[53:54], v[23:24]
	v_add_f64 v[23:24], v[53:54], -v[23:24]
	v_mul_f64 v[53:54], v[43:44], -0.5
	v_mul_f64 v[57:58], v[27:28], -0.5
	v_fma_f64 v[31:32], v[17:18], s[14:15], v[59:60]
	v_fma_f64 v[59:60], v[75:76], s[14:15], v[47:48]
	;; [unrolled: 1-line block ×3, first 2 shown]
	v_add_f64 v[47:48], v[77:78], v[37:38]
	v_add_f64 v[67:68], v[29:30], v[21:22]
	v_fma_f64 v[51:52], v[39:40], 0.5, v[51:52]
	v_fma_f64 v[55:56], v[55:56], 0.5, v[35:36]
	v_fma_f64 v[53:54], v[27:28], s[12:13], v[53:54]
	v_fma_f64 v[57:58], v[43:44], s[14:15], v[57:58]
	v_add_f64 v[13:14], v[33:34], v[25:26]
	v_add_f64 v[17:18], v[45:46], v[31:32]
	v_add_f64 v[21:22], v[33:34], -v[25:26]
	v_add_f64 v[25:26], v[45:46], -v[31:32]
	v_add_f64 v[27:28], v[41:42], v[47:48]
	v_add_f64 v[29:30], v[49:50], v[67:68]
	;; [unrolled: 1-line block ×6, first 2 shown]
	v_add_f64 v[39:40], v[41:42], -v[47:48]
	v_add_f64 v[41:42], v[49:50], -v[67:68]
	ds_write_b128 v100, v[3:6]
	ds_write_b128 v100, v[11:14] offset:1024
	ds_write_b128 v100, v[15:18] offset:2048
	;; [unrolled: 1-line block ×5, first 2 shown]
	v_lshrrev_b32_e32 v3, 4, v99
	v_add_f64 v[43:44], v[61:62], -v[51:52]
	v_add_f64 v[45:46], v[59:60], -v[55:56]
	v_mul_u32_u24_e32 v3, 0x60, v3
	v_add_f64 v[47:48], v[63:64], -v[53:54]
	v_add_f64 v[49:50], v[65:66], -v[57:58]
	v_or_b32_e32 v3, v3, v94
	v_lshlrev_b32_e32 v3, 6, v3
	v_add3_u32 v3, 0, v3, v93
	ds_write_b128 v3, v[27:30]
	ds_write_b128 v3, v[31:34] offset:1024
	ds_write_b128 v3, v[35:38] offset:2048
	;; [unrolled: 1-line block ×5, first 2 shown]
	v_lshlrev_b32_e32 v3, 4, v94
	v_lshlrev_b32_e32 v7, 4, v99
	s_waitcnt lgkmcnt(0)
	; wave barrier
	s_waitcnt lgkmcnt(0)
	global_load_dwordx4 v[3:6], v3, s[8:9] offset:1504
	v_lshlrev_b32_e32 v11, 4, v98
	global_load_dwordx4 v[7:10], v7, s[8:9] offset:1504
	v_mul_u32_u24_e32 v19, 0x2ab, v96
	global_load_dwordx4 v[11:14], v11, s[8:9] offset:1504
	v_mul_lo_u16_sdwa v19, v19, s7 dst_sel:DWORD dst_unused:UNUSED_PAD src0_sel:WORD_1 src1_sel:DWORD
	v_sub_u16_e32 v81, v96, v19
	v_mul_u32_u24_e32 v20, 0x2ab, v95
	v_lshlrev_b32_e32 v15, 4, v97
	global_load_dwordx4 v[15:18], v15, s[8:9] offset:1504
	v_lshlrev_b32_e32 v19, 4, v81
	v_mul_lo_u16_sdwa v20, v20, s7 dst_sel:DWORD dst_unused:UNUSED_PAD src0_sel:WORD_1 src1_sel:DWORD
	v_sub_u16_e32 v82, v95, v20
	global_load_dwordx4 v[19:22], v19, s[8:9] offset:1504
	v_lshlrev_b32_e32 v23, 4, v82
	global_load_dwordx4 v[23:26], v23, s[8:9] offset:1504
	ds_read_b128 v[27:30], v102
	ds_read_b128 v[31:34], v102 offset:6144
	ds_read_b128 v[35:38], v102 offset:7168
	;; [unrolled: 1-line block ×3, first 2 shown]
	ds_read_b128 v[43:46], v1
	ds_read_b128 v[47:50], v2
	ds_read_b128 v[51:54], v102 offset:9216
	ds_read_b128 v[55:58], v102 offset:10240
	v_lshlrev_b32_e32 v1, 6, v95
	v_add3_u32 v1, 0, v1, v93
	ds_read_b128 v[59:62], v0
	ds_read_b128 v[63:66], v1
	;; [unrolled: 1-line block ×3, first 2 shown]
	ds_read_b128 v[71:74], v102 offset:11264
	s_mul_hi_u32 s7, s0, s16
	s_add_i32 s9, s7, s1
	s_mul_i32 s8, s0, s16
	s_mul_i32 s0, s3, s17
	s_mul_hi_u32 s1, s2, s17
	s_add_i32 s1, s1, s0
	s_mul_i32 s0, s2, s17
	s_lshl_b64 s[2:3], s[8:9], 4
	s_add_u32 s4, s4, s2
	s_addc_u32 s5, s5, s3
	s_lshl_b64 s[2:3], s[10:11], 4
	s_add_u32 s2, s4, s2
	s_addc_u32 s3, s5, s3
	;; [unrolled: 3-line block ×3, first 2 shown]
	s_waitcnt vmcnt(5) lgkmcnt(10)
	v_mul_f64 v[0:1], v[33:34], v[5:6]
	v_mul_f64 v[5:6], v[31:32], v[5:6]
	s_waitcnt vmcnt(4) lgkmcnt(9)
	v_mul_f64 v[75:76], v[37:38], v[9:10]
	v_mul_f64 v[9:10], v[35:36], v[9:10]
	;; [unrolled: 3-line block ×3, first 2 shown]
	v_fma_f64 v[0:1], v[31:32], v[3:4], -v[0:1]
	s_waitcnt vmcnt(2) lgkmcnt(5)
	v_mul_f64 v[79:80], v[53:54], v[17:18]
	v_mul_f64 v[17:18], v[51:52], v[17:18]
	v_fma_f64 v[2:3], v[33:34], v[3:4], v[5:6]
	v_fma_f64 v[4:5], v[35:36], v[7:8], -v[75:76]
	v_fma_f64 v[6:7], v[37:38], v[7:8], v[9:10]
	s_waitcnt vmcnt(1) lgkmcnt(4)
	v_mul_f64 v[8:9], v[57:58], v[21:22]
	v_fma_f64 v[31:32], v[39:40], v[11:12], -v[77:78]
	v_fma_f64 v[33:34], v[41:42], v[11:12], v[13:14]
	v_mul_f64 v[10:11], v[55:56], v[21:22]
	v_fma_f64 v[35:36], v[51:52], v[15:16], -v[79:80]
	v_fma_f64 v[37:38], v[53:54], v[15:16], v[17:18]
	s_waitcnt vmcnt(0) lgkmcnt(0)
	v_mul_f64 v[12:13], v[73:74], v[25:26]
	v_mul_f64 v[14:15], v[71:72], v[25:26]
	v_fma_f64 v[25:26], v[55:56], v[19:20], -v[8:9]
	v_add_f64 v[0:1], v[27:28], -v[0:1]
	v_add_f64 v[2:3], v[29:30], -v[2:3]
	v_fma_f64 v[39:40], v[57:58], v[19:20], v[10:11]
	v_add_f64 v[16:17], v[43:44], -v[31:32]
	v_add_f64 v[4:5], v[59:60], -v[4:5]
	v_fma_f64 v[41:42], v[71:72], v[23:24], -v[12:13]
	v_fma_f64 v[51:52], v[73:74], v[23:24], v[14:15]
	v_add_f64 v[24:25], v[47:48], -v[25:26]
	v_fma_f64 v[8:9], v[27:28], 2.0, -v[0:1]
	v_add_f64 v[6:7], v[61:62], -v[6:7]
	v_add_f64 v[26:27], v[49:50], -v[39:40]
	v_fma_f64 v[10:11], v[29:30], 2.0, -v[2:3]
	v_add_f64 v[18:19], v[45:46], -v[33:34]
	v_add_f64 v[28:29], v[63:64], -v[41:42]
	v_add_f64 v[30:31], v[65:66], -v[51:52]
	v_fma_f64 v[40:41], v[47:48], 2.0, -v[24:25]
	v_mul_lo_u32 v48, v94, s6
	v_fma_f64 v[32:33], v[43:44], 2.0, -v[16:17]
	v_fma_f64 v[42:43], v[49:50], 2.0, -v[26:27]
	v_mov_b32_e32 v49, 0
	v_mov_b32_e32 v50, s1
	v_add_co_u32_e32 v52, vcc, s0, v93
	v_addc_co_u32_e32 v53, vcc, 0, v50, vcc
	v_lshlrev_b64 v[50:51], 4, v[48:49]
	s_mul_i32 s0, s6, 0x60
	v_add_co_u32_e32 v50, vcc, v52, v50
	v_addc_co_u32_e32 v51, vcc, v53, v51, vcc
	v_add_u32_e32 v48, s0, v48
	v_fma_f64 v[12:13], v[59:60], 2.0, -v[4:5]
	v_fma_f64 v[14:15], v[61:62], 2.0, -v[6:7]
	global_store_dwordx4 v[50:51], v[8:11], off
	v_add_f64 v[20:21], v[67:68], -v[35:36]
	v_lshlrev_b64 v[8:9], 4, v[48:49]
	v_mul_lo_u32 v48, v99, s6
	v_add_co_u32_e32 v8, vcc, v52, v8
	v_addc_co_u32_e32 v9, vcc, v53, v9, vcc
	global_store_dwordx4 v[8:9], v[0:3], off
	v_add_f64 v[22:23], v[69:70], -v[37:38]
	v_lshlrev_b64 v[0:1], 4, v[48:49]
	v_add_u32_e32 v48, s0, v48
	v_add_co_u32_e32 v0, vcc, v52, v0
	v_addc_co_u32_e32 v1, vcc, v53, v1, vcc
	v_fma_f64 v[34:35], v[45:46], 2.0, -v[18:19]
	global_store_dwordx4 v[0:1], v[12:15], off
	v_lshlrev_b64 v[0:1], 4, v[48:49]
	v_mul_lo_u32 v48, v98, s6
	v_add_co_u32_e32 v0, vcc, v52, v0
	v_addc_co_u32_e32 v1, vcc, v53, v1, vcc
	global_store_dwordx4 v[0:1], v[4:7], off
	v_lshlrev_b64 v[0:1], 4, v[48:49]
	v_add_u32_e32 v48, s0, v48
	v_add_co_u32_e32 v0, vcc, v52, v0
	v_addc_co_u32_e32 v1, vcc, v53, v1, vcc
	v_fma_f64 v[36:37], v[67:68], 2.0, -v[20:21]
	v_fma_f64 v[38:39], v[69:70], 2.0, -v[22:23]
	global_store_dwordx4 v[0:1], v[32:35], off
	v_lshlrev_b64 v[0:1], 4, v[48:49]
	v_mul_lo_u32 v48, v97, s6
	v_add_co_u32_e32 v0, vcc, v52, v0
	v_addc_co_u32_e32 v1, vcc, v53, v1, vcc
	global_store_dwordx4 v[0:1], v[16:19], off
	v_lshlrev_b64 v[0:1], 4, v[48:49]
	v_sub_u32_e32 v2, v96, v81
	v_add_co_u32_e32 v0, vcc, v52, v0
	v_addc_co_u32_e32 v1, vcc, v53, v1, vcc
	v_add_u32_e32 v48, s0, v48
	v_add_u32_e32 v2, v2, v96
	global_store_dwordx4 v[0:1], v[36:39], off
	v_lshlrev_b64 v[0:1], 4, v[48:49]
	v_mul_lo_u32 v48, v2, s6
	v_add_co_u32_e32 v0, vcc, v52, v0
	v_addc_co_u32_e32 v1, vcc, v53, v1, vcc
	global_store_dwordx4 v[0:1], v[20:23], off
	v_lshlrev_b64 v[0:1], 4, v[48:49]
	v_sub_u32_e32 v2, v95, v82
	v_add_co_u32_e32 v0, vcc, v52, v0
	v_addc_co_u32_e32 v1, vcc, v53, v1, vcc
	v_add_u32_e32 v48, s0, v48
	v_add_u32_e32 v2, v2, v95
	v_fma_f64 v[44:45], v[63:64], 2.0, -v[28:29]
	v_fma_f64 v[46:47], v[65:66], 2.0, -v[30:31]
	global_store_dwordx4 v[0:1], v[40:43], off
	v_lshlrev_b64 v[0:1], 4, v[48:49]
	v_mul_lo_u32 v48, v2, s6
	v_add_co_u32_e32 v0, vcc, v52, v0
	v_addc_co_u32_e32 v1, vcc, v53, v1, vcc
	global_store_dwordx4 v[0:1], v[24:27], off
	v_lshlrev_b64 v[0:1], 4, v[48:49]
	v_add_u32_e32 v48, s0, v48
	v_add_co_u32_e32 v0, vcc, v52, v0
	v_addc_co_u32_e32 v1, vcc, v53, v1, vcc
	global_store_dwordx4 v[0:1], v[44:47], off
	v_lshlrev_b64 v[0:1], 4, v[48:49]
	v_add_co_u32_e32 v0, vcc, v52, v0
	v_addc_co_u32_e32 v1, vcc, v53, v1, vcc
	global_store_dwordx4 v[0:1], v[28:31], off
	s_endpgm
	.section	.rodata,"a",@progbits
	.p2align	6, 0x0
	.amdhsa_kernel fft_rtc_fwd_len192_factors_2_8_6_2_wgs_64_tpt_16_dim3_dp_op_CI_CI_unitstride_sbrc_aligned_dirReg
		.amdhsa_group_segment_fixed_size 0
		.amdhsa_private_segment_fixed_size 0
		.amdhsa_kernarg_size 96
		.amdhsa_user_sgpr_count 6
		.amdhsa_user_sgpr_private_segment_buffer 1
		.amdhsa_user_sgpr_dispatch_ptr 0
		.amdhsa_user_sgpr_queue_ptr 0
		.amdhsa_user_sgpr_kernarg_segment_ptr 1
		.amdhsa_user_sgpr_dispatch_id 0
		.amdhsa_user_sgpr_flat_scratch_init 0
		.amdhsa_user_sgpr_private_segment_size 0
		.amdhsa_uses_dynamic_stack 0
		.amdhsa_system_sgpr_private_segment_wavefront_offset 0
		.amdhsa_system_sgpr_workgroup_id_x 1
		.amdhsa_system_sgpr_workgroup_id_y 0
		.amdhsa_system_sgpr_workgroup_id_z 0
		.amdhsa_system_sgpr_workgroup_info 0
		.amdhsa_system_vgpr_workitem_id 0
		.amdhsa_next_free_vgpr 115
		.amdhsa_next_free_sgpr 28
		.amdhsa_reserve_vcc 1
		.amdhsa_reserve_flat_scratch 0
		.amdhsa_float_round_mode_32 0
		.amdhsa_float_round_mode_16_64 0
		.amdhsa_float_denorm_mode_32 3
		.amdhsa_float_denorm_mode_16_64 3
		.amdhsa_dx10_clamp 1
		.amdhsa_ieee_mode 1
		.amdhsa_fp16_overflow 0
		.amdhsa_exception_fp_ieee_invalid_op 0
		.amdhsa_exception_fp_denorm_src 0
		.amdhsa_exception_fp_ieee_div_zero 0
		.amdhsa_exception_fp_ieee_overflow 0
		.amdhsa_exception_fp_ieee_underflow 0
		.amdhsa_exception_fp_ieee_inexact 0
		.amdhsa_exception_int_div_zero 0
	.end_amdhsa_kernel
	.text
.Lfunc_end0:
	.size	fft_rtc_fwd_len192_factors_2_8_6_2_wgs_64_tpt_16_dim3_dp_op_CI_CI_unitstride_sbrc_aligned_dirReg, .Lfunc_end0-fft_rtc_fwd_len192_factors_2_8_6_2_wgs_64_tpt_16_dim3_dp_op_CI_CI_unitstride_sbrc_aligned_dirReg
                                        ; -- End function
	.section	.AMDGPU.csdata,"",@progbits
; Kernel info:
; codeLenInByte = 6528
; NumSgprs: 32
; NumVgprs: 115
; ScratchSize: 0
; MemoryBound: 0
; FloatMode: 240
; IeeeMode: 1
; LDSByteSize: 0 bytes/workgroup (compile time only)
; SGPRBlocks: 3
; VGPRBlocks: 28
; NumSGPRsForWavesPerEU: 32
; NumVGPRsForWavesPerEU: 115
; Occupancy: 2
; WaveLimiterHint : 1
; COMPUTE_PGM_RSRC2:SCRATCH_EN: 0
; COMPUTE_PGM_RSRC2:USER_SGPR: 6
; COMPUTE_PGM_RSRC2:TRAP_HANDLER: 0
; COMPUTE_PGM_RSRC2:TGID_X_EN: 1
; COMPUTE_PGM_RSRC2:TGID_Y_EN: 0
; COMPUTE_PGM_RSRC2:TGID_Z_EN: 0
; COMPUTE_PGM_RSRC2:TIDIG_COMP_CNT: 0
	.type	__hip_cuid_5854ed88fdbbe786,@object ; @__hip_cuid_5854ed88fdbbe786
	.section	.bss,"aw",@nobits
	.globl	__hip_cuid_5854ed88fdbbe786
__hip_cuid_5854ed88fdbbe786:
	.byte	0                               ; 0x0
	.size	__hip_cuid_5854ed88fdbbe786, 1

	.ident	"AMD clang version 19.0.0git (https://github.com/RadeonOpenCompute/llvm-project roc-6.4.0 25133 c7fe45cf4b819c5991fe208aaa96edf142730f1d)"
	.section	".note.GNU-stack","",@progbits
	.addrsig
	.addrsig_sym __hip_cuid_5854ed88fdbbe786
	.amdgpu_metadata
---
amdhsa.kernels:
  - .args:
      - .actual_access:  read_only
        .address_space:  global
        .offset:         0
        .size:           8
        .value_kind:     global_buffer
      - .actual_access:  read_only
        .address_space:  global
        .offset:         8
        .size:           8
        .value_kind:     global_buffer
      - .actual_access:  read_only
        .address_space:  global
        .offset:         16
        .size:           8
        .value_kind:     global_buffer
      - .actual_access:  read_only
        .address_space:  global
        .offset:         24
        .size:           8
        .value_kind:     global_buffer
      - .offset:         32
        .size:           8
        .value_kind:     by_value
      - .actual_access:  read_only
        .address_space:  global
        .offset:         40
        .size:           8
        .value_kind:     global_buffer
      - .actual_access:  read_only
        .address_space:  global
        .offset:         48
        .size:           8
        .value_kind:     global_buffer
      - .offset:         56
        .size:           4
        .value_kind:     by_value
      - .actual_access:  read_only
        .address_space:  global
        .offset:         64
        .size:           8
        .value_kind:     global_buffer
      - .actual_access:  read_only
        .address_space:  global
        .offset:         72
        .size:           8
        .value_kind:     global_buffer
      - .actual_access:  read_only
        .address_space:  global
        .offset:         80
        .size:           8
        .value_kind:     global_buffer
      - .actual_access:  write_only
        .address_space:  global
        .offset:         88
        .size:           8
        .value_kind:     global_buffer
    .group_segment_fixed_size: 0
    .kernarg_segment_align: 8
    .kernarg_segment_size: 96
    .language:       OpenCL C
    .language_version:
      - 2
      - 0
    .max_flat_workgroup_size: 64
    .name:           fft_rtc_fwd_len192_factors_2_8_6_2_wgs_64_tpt_16_dim3_dp_op_CI_CI_unitstride_sbrc_aligned_dirReg
    .private_segment_fixed_size: 0
    .sgpr_count:     32
    .sgpr_spill_count: 0
    .symbol:         fft_rtc_fwd_len192_factors_2_8_6_2_wgs_64_tpt_16_dim3_dp_op_CI_CI_unitstride_sbrc_aligned_dirReg.kd
    .uniform_work_group_size: 1
    .uses_dynamic_stack: false
    .vgpr_count:     115
    .vgpr_spill_count: 0
    .wavefront_size: 64
amdhsa.target:   amdgcn-amd-amdhsa--gfx906
amdhsa.version:
  - 1
  - 2
...

	.end_amdgpu_metadata
